;; amdgpu-corpus repo=llvm/llvm-project kind=harvested arch=n/a opt=n/a
// NOTE: Assertions have been autogenerated by utils/update_mc_test_checks.py UTC_ARGS: --unique --sort --version 5
// RUN: not llvm-mc -triple=amdgcn -mcpu=gfx1200 -mattr=-real-true16 -filetype=null %s 2>&1 | FileCheck --check-prefix=GFX12 --implicit-check-not=error %s

v_ceil_f16_e32 v128, 0xfe0b
// GFX12: :[[@LINE-1]]:1: error: operands are not valid for this GPU or mode

v_ceil_f16_e32 v255, v1
// GFX12: :[[@LINE-1]]:1: error: operands are not valid for this GPU or mode

v_ceil_f16_e32 v255, v1 dpp8:[7,6,5,4,3,2,1,0]
// GFX12: :[[@LINE-1]]:25: error: invalid operand for instruction

v_ceil_f16_e32 v255, v1 quad_perm:[3,2,1,0]
// GFX12: :[[@LINE-1]]:25: error: invalid operand for instruction

v_ceil_f16_e32 v5, v199
// GFX12: :[[@LINE-1]]:1: error: operands are not valid for this GPU or mode

v_ceil_f16_e32 v5, v199 dpp8:[7,6,5,4,3,2,1,0]
// GFX12: :[[@LINE-1]]:25: error: invalid operand for instruction

v_ceil_f16_e32 v5, v199 quad_perm:[3,2,1,0]
// GFX12: :[[@LINE-1]]:25: error: invalid operand for instruction

v_cos_f16_e32 v128, 0xfe0b
// GFX12: :[[@LINE-1]]:1: error: operands are not valid for this GPU or mode

v_cos_f16_e32 v255, v1
// GFX12: :[[@LINE-1]]:1: error: operands are not valid for this GPU or mode

v_cos_f16_e32 v255, v1 dpp8:[7,6,5,4,3,2,1,0]
// GFX12: :[[@LINE-1]]:24: error: invalid operand for instruction

v_cos_f16_e32 v255, v1 quad_perm:[3,2,1,0]
// GFX12: :[[@LINE-1]]:24: error: invalid operand for instruction

v_cos_f16_e32 v5, v199
// GFX12: :[[@LINE-1]]:1: error: operands are not valid for this GPU or mode

v_cos_f16_e32 v5, v199 dpp8:[7,6,5,4,3,2,1,0]
// GFX12: :[[@LINE-1]]:24: error: invalid operand for instruction

v_cos_f16_e32 v5, v199 quad_perm:[3,2,1,0]
// GFX12: :[[@LINE-1]]:24: error: invalid operand for instruction

v_cvt_f16_f32_e32 v128, 0xaf123456
// GFX12: :[[@LINE-1]]:1: error: operands are not valid for this GPU or mode

v_cvt_f16_f32_e32 v128, 0xaf123456 dpp8:[7,6,5,4,3,2,1,0]
// GFX12: :[[@LINE-1]]:36: error: invalid operand for instruction

v_cvt_f16_f32_e32 v128, 0xaf123456 quad_perm:[3,2,1,0]
// GFX12: :[[@LINE-1]]:36: error: invalid operand for instruction

v_cvt_f16_f32_e32 v255, v1
// GFX12: :[[@LINE-1]]:1: error: operands are not valid for this GPU or mode

v_cvt_f16_f32_e32 v255, v1 dpp8:[7,6,5,4,3,2,1,0]
// GFX12: :[[@LINE-1]]:28: error: invalid operand for instruction

v_cvt_f16_f32_e32 v255, v1 quad_perm:[3,2,1,0]
	;; [unrolled: 9-line block ×3, first 2 shown]
// GFX12: :[[@LINE-1]]:30: error: invalid operand for instruction

v_cvt_f16_i16_e32 v128, 0xfe0b
// GFX12: :[[@LINE-1]]:1: error: operands are not valid for this GPU or mode

v_cvt_f16_i16_e32 v255, v1
// GFX12: :[[@LINE-1]]:1: error: operands are not valid for this GPU or mode

v_cvt_f16_i16_e32 v255, v1 dpp8:[7,6,5,4,3,2,1,0]
// GFX12: :[[@LINE-1]]:28: error: invalid operand for instruction

v_cvt_f16_i16_e32 v255, v1 quad_perm:[3,2,1,0]
// GFX12: :[[@LINE-1]]:28: error: invalid operand for instruction

v_cvt_f16_i16_e32 v5, v199
// GFX12: :[[@LINE-1]]:1: error: operands are not valid for this GPU or mode

v_cvt_f16_i16_e32 v5, v199 dpp8:[7,6,5,4,3,2,1,0]
// GFX12: :[[@LINE-1]]:28: error: invalid operand for instruction

v_cvt_f16_i16_e32 v5, v199 quad_perm:[3,2,1,0]
// GFX12: :[[@LINE-1]]:28: error: invalid operand for instruction

v_cvt_f16_u16_e32 v128, 0xfe0b
// GFX12: :[[@LINE-1]]:1: error: operands are not valid for this GPU or mode

v_cvt_f16_u16_e32 v255, v1
// GFX12: :[[@LINE-1]]:1: error: operands are not valid for this GPU or mode

v_cvt_f16_u16_e32 v255, v1 dpp8:[7,6,5,4,3,2,1,0]
// GFX12: :[[@LINE-1]]:28: error: invalid operand for instruction

v_cvt_f16_u16_e32 v255, v1 quad_perm:[3,2,1,0]
// GFX12: :[[@LINE-1]]:28: error: invalid operand for instruction

v_cvt_f16_u16_e32 v5, v199
// GFX12: :[[@LINE-1]]:1: error: operands are not valid for this GPU or mode

v_cvt_f16_u16_e32 v5, v199 dpp8:[7,6,5,4,3,2,1,0]
// GFX12: :[[@LINE-1]]:28: error: invalid operand for instruction

v_cvt_f16_u16_e32 v5, v199 quad_perm:[3,2,1,0]
// GFX12: :[[@LINE-1]]:28: error: invalid operand for instruction

v_cvt_f32_f16_e32 v5, v199
// GFX12: :[[@LINE-1]]:1: error: operands are not valid for this GPU or mode

v_cvt_f32_f16_e32 v5, v199 dpp8:[7,6,5,4,3,2,1,0]
// GFX12: :[[@LINE-1]]:28: error: invalid operand for instruction

v_cvt_f32_f16_e32 v5, v199 quad_perm:[3,2,1,0]
// GFX12: :[[@LINE-1]]:28: error: invalid operand for instruction

v_cvt_i16_f16_e32 v128, 0xfe0b
// GFX12: :[[@LINE-1]]:1: error: operands are not valid for this GPU or mode

v_cvt_i16_f16_e32 v255, v1
// GFX12: :[[@LINE-1]]:1: error: operands are not valid for this GPU or mode

v_cvt_i16_f16_e32 v255, v1 dpp8:[7,6,5,4,3,2,1,0]
// GFX12: :[[@LINE-1]]:28: error: invalid operand for instruction

v_cvt_i16_f16_e32 v255, v1 quad_perm:[3,2,1,0]
// GFX12: :[[@LINE-1]]:28: error: invalid operand for instruction

v_cvt_i16_f16_e32 v5, v199
// GFX12: :[[@LINE-1]]:1: error: operands are not valid for this GPU or mode

v_cvt_i16_f16_e32 v5, v199 dpp8:[7,6,5,4,3,2,1,0]
// GFX12: :[[@LINE-1]]:28: error: invalid operand for instruction

v_cvt_i16_f16_e32 v5, v199 quad_perm:[3,2,1,0]
// GFX12: :[[@LINE-1]]:28: error: invalid operand for instruction

v_cvt_i32_i16_e32 v5, v199
// GFX12: :[[@LINE-1]]:23: error: invalid operand for instruction

v_cvt_i32_i16_e32 v5, v199 dpp8:[7,6,5,4,3,2,1,0]
// GFX12: :[[@LINE-1]]:23: error: invalid operand for instruction

v_cvt_i32_i16_e32 v5, v199 quad_perm:[3,2,1,0]
// GFX12: :[[@LINE-1]]:23: error: invalid operand for instruction

v_cvt_norm_i16_f16_e32 v128, 0xfe0b
// GFX12: :[[@LINE-1]]:1: error: operands are not valid for this GPU or mode

v_cvt_norm_i16_f16_e32 v255, v1
// GFX12: :[[@LINE-1]]:1: error: operands are not valid for this GPU or mode

v_cvt_norm_i16_f16_e32 v255, v1 dpp8:[7,6,5,4,3,2,1,0]
// GFX12: :[[@LINE-1]]:33: error: invalid operand for instruction

v_cvt_norm_i16_f16_e32 v255, v1 quad_perm:[3,2,1,0]
// GFX12: :[[@LINE-1]]:33: error: invalid operand for instruction

v_cvt_norm_i16_f16_e32 v5, v199
// GFX12: :[[@LINE-1]]:1: error: operands are not valid for this GPU or mode

v_cvt_norm_i16_f16_e32 v5, v199 dpp8:[7,6,5,4,3,2,1,0]
// GFX12: :[[@LINE-1]]:33: error: invalid operand for instruction

v_cvt_norm_i16_f16_e32 v5, v199 quad_perm:[3,2,1,0]
// GFX12: :[[@LINE-1]]:33: error: invalid operand for instruction

v_cvt_norm_u16_f16_e32 v128, 0xfe0b
// GFX12: :[[@LINE-1]]:1: error: operands are not valid for this GPU or mode

v_cvt_norm_u16_f16_e32 v255, v1
// GFX12: :[[@LINE-1]]:1: error: operands are not valid for this GPU or mode

v_cvt_norm_u16_f16_e32 v255, v1 dpp8:[7,6,5,4,3,2,1,0]
// GFX12: :[[@LINE-1]]:33: error: invalid operand for instruction

v_cvt_norm_u16_f16_e32 v255, v1 quad_perm:[3,2,1,0]
// GFX12: :[[@LINE-1]]:33: error: invalid operand for instruction

v_cvt_norm_u16_f16_e32 v5, v199
// GFX12: :[[@LINE-1]]:1: error: operands are not valid for this GPU or mode

v_cvt_norm_u16_f16_e32 v5, v199 dpp8:[7,6,5,4,3,2,1,0]
// GFX12: :[[@LINE-1]]:33: error: invalid operand for instruction

v_cvt_norm_u16_f16_e32 v5, v199 quad_perm:[3,2,1,0]
// GFX12: :[[@LINE-1]]:33: error: invalid operand for instruction

v_cvt_u16_f16_e32 v128, 0xfe0b
// GFX12: :[[@LINE-1]]:1: error: operands are not valid for this GPU or mode

v_cvt_u16_f16_e32 v255, v1
// GFX12: :[[@LINE-1]]:1: error: operands are not valid for this GPU or mode

v_cvt_u16_f16_e32 v255, v1 dpp8:[7,6,5,4,3,2,1,0]
// GFX12: :[[@LINE-1]]:28: error: invalid operand for instruction

v_cvt_u16_f16_e32 v255, v1 quad_perm:[3,2,1,0]
// GFX12: :[[@LINE-1]]:28: error: invalid operand for instruction

v_cvt_u16_f16_e32 v5, v199
// GFX12: :[[@LINE-1]]:1: error: operands are not valid for this GPU or mode

v_cvt_u16_f16_e32 v5, v199 dpp8:[7,6,5,4,3,2,1,0]
// GFX12: :[[@LINE-1]]:28: error: invalid operand for instruction

v_cvt_u16_f16_e32 v5, v199 quad_perm:[3,2,1,0]
// GFX12: :[[@LINE-1]]:28: error: invalid operand for instruction

v_cvt_u32_u16_e32 v5, v199
// GFX12: :[[@LINE-1]]:23: error: invalid operand for instruction

v_cvt_u32_u16_e32 v5, v199 dpp8:[7,6,5,4,3,2,1,0]
// GFX12: :[[@LINE-1]]:23: error: invalid operand for instruction

v_cvt_u32_u16_e32 v5, v199 quad_perm:[3,2,1,0]
// GFX12: :[[@LINE-1]]:23: error: invalid operand for instruction

v_exp_f16_e32 v128, 0xfe0b
// GFX12: :[[@LINE-1]]:1: error: operands are not valid for this GPU or mode

v_exp_f16_e32 v255, v1
// GFX12: :[[@LINE-1]]:1: error: operands are not valid for this GPU or mode

v_exp_f16_e32 v255, v1 dpp8:[7,6,5,4,3,2,1,0]
// GFX12: :[[@LINE-1]]:24: error: invalid operand for instruction

v_exp_f16_e32 v255, v1 quad_perm:[3,2,1,0]
// GFX12: :[[@LINE-1]]:24: error: invalid operand for instruction

v_exp_f16_e32 v5, v199
// GFX12: :[[@LINE-1]]:1: error: operands are not valid for this GPU or mode

v_exp_f16_e32 v5, v199 dpp8:[7,6,5,4,3,2,1,0]
// GFX12: :[[@LINE-1]]:24: error: invalid operand for instruction

v_exp_f16_e32 v5, v199 quad_perm:[3,2,1,0]
// GFX12: :[[@LINE-1]]:24: error: invalid operand for instruction

v_floor_f16_e32 v128, 0xfe0b
// GFX12: :[[@LINE-1]]:1: error: operands are not valid for this GPU or mode

v_floor_f16_e32 v255, v1
// GFX12: :[[@LINE-1]]:1: error: operands are not valid for this GPU or mode

v_floor_f16_e32 v255, v1 dpp8:[7,6,5,4,3,2,1,0]
// GFX12: :[[@LINE-1]]:26: error: invalid operand for instruction

v_floor_f16_e32 v255, v1 quad_perm:[3,2,1,0]
// GFX12: :[[@LINE-1]]:26: error: invalid operand for instruction

v_floor_f16_e32 v5, v199
// GFX12: :[[@LINE-1]]:1: error: operands are not valid for this GPU or mode

v_floor_f16_e32 v5, v199 dpp8:[7,6,5,4,3,2,1,0]
// GFX12: :[[@LINE-1]]:26: error: invalid operand for instruction

v_floor_f16_e32 v5, v199 quad_perm:[3,2,1,0]
// GFX12: :[[@LINE-1]]:26: error: invalid operand for instruction

v_fract_f16_e32 v128, 0xfe0b
// GFX12: :[[@LINE-1]]:1: error: operands are not valid for this GPU or mode

v_fract_f16_e32 v255, v1
// GFX12: :[[@LINE-1]]:1: error: operands are not valid for this GPU or mode

v_fract_f16_e32 v255, v1 dpp8:[7,6,5,4,3,2,1,0]
// GFX12: :[[@LINE-1]]:26: error: invalid operand for instruction

v_fract_f16_e32 v255, v1 quad_perm:[3,2,1,0]
// GFX12: :[[@LINE-1]]:26: error: invalid operand for instruction

v_fract_f16_e32 v5, v199
// GFX12: :[[@LINE-1]]:1: error: operands are not valid for this GPU or mode

v_fract_f16_e32 v5, v199 dpp8:[7,6,5,4,3,2,1,0]
// GFX12: :[[@LINE-1]]:26: error: invalid operand for instruction

v_fract_f16_e32 v5, v199 quad_perm:[3,2,1,0]
// GFX12: :[[@LINE-1]]:26: error: invalid operand for instruction

v_frexp_exp_i16_f16_e32 v128, 0xfe0b
// GFX12: :[[@LINE-1]]:1: error: operands are not valid for this GPU or mode

v_frexp_exp_i16_f16_e32 v255, v1
// GFX12: :[[@LINE-1]]:1: error: operands are not valid for this GPU or mode

v_frexp_exp_i16_f16_e32 v255, v1 dpp8:[7,6,5,4,3,2,1,0]
// GFX12: :[[@LINE-1]]:34: error: invalid operand for instruction

v_frexp_exp_i16_f16_e32 v255, v1 quad_perm:[3,2,1,0]
// GFX12: :[[@LINE-1]]:34: error: invalid operand for instruction

v_frexp_exp_i16_f16_e32 v5, v199
// GFX12: :[[@LINE-1]]:1: error: operands are not valid for this GPU or mode

v_frexp_exp_i16_f16_e32 v5, v199 dpp8:[7,6,5,4,3,2,1,0]
// GFX12: :[[@LINE-1]]:34: error: invalid operand for instruction

v_frexp_exp_i16_f16_e32 v5, v199 quad_perm:[3,2,1,0]
// GFX12: :[[@LINE-1]]:34: error: invalid operand for instruction

v_frexp_mant_f16_e32 v128, 0xfe0b
// GFX12: :[[@LINE-1]]:1: error: operands are not valid for this GPU or mode

v_frexp_mant_f16_e32 v255, v1
// GFX12: :[[@LINE-1]]:1: error: operands are not valid for this GPU or mode

v_frexp_mant_f16_e32 v255, v1 dpp8:[7,6,5,4,3,2,1,0]
// GFX12: :[[@LINE-1]]:31: error: invalid operand for instruction

v_frexp_mant_f16_e32 v255, v1 quad_perm:[3,2,1,0]
// GFX12: :[[@LINE-1]]:31: error: invalid operand for instruction

v_frexp_mant_f16_e32 v5, v199
// GFX12: :[[@LINE-1]]:1: error: operands are not valid for this GPU or mode

v_frexp_mant_f16_e32 v5, v199 dpp8:[7,6,5,4,3,2,1,0]
// GFX12: :[[@LINE-1]]:31: error: invalid operand for instruction

v_frexp_mant_f16_e32 v5, v199 quad_perm:[3,2,1,0]
// GFX12: :[[@LINE-1]]:31: error: invalid operand for instruction

v_log_f16_e32 v128, 0xfe0b
// GFX12: :[[@LINE-1]]:1: error: operands are not valid for this GPU or mode

v_log_f16_e32 v255, v1
// GFX12: :[[@LINE-1]]:1: error: operands are not valid for this GPU or mode

v_log_f16_e32 v255, v1 dpp8:[7,6,5,4,3,2,1,0]
// GFX12: :[[@LINE-1]]:24: error: invalid operand for instruction

v_log_f16_e32 v255, v1 quad_perm:[3,2,1,0]
// GFX12: :[[@LINE-1]]:24: error: invalid operand for instruction

v_log_f16_e32 v5, v199
// GFX12: :[[@LINE-1]]:1: error: operands are not valid for this GPU or mode

v_log_f16_e32 v5, v199 dpp8:[7,6,5,4,3,2,1,0]
// GFX12: :[[@LINE-1]]:24: error: invalid operand for instruction

v_log_f16_e32 v5, v199 quad_perm:[3,2,1,0]
// GFX12: :[[@LINE-1]]:24: error: invalid operand for instruction

v_not_b16_e32 v128, 0xfe0b
// GFX12: :[[@LINE-1]]:15: error: invalid operand for instruction

v_not_b16_e32 v255, v1
// GFX12: :[[@LINE-1]]:15: error: invalid operand for instruction

v_not_b16_e32 v255, v1 dpp8:[7,6,5,4,3,2,1,0]
// GFX12: :[[@LINE-1]]:15: error: invalid operand for instruction

v_not_b16_e32 v255, v1 quad_perm:[3,2,1,0]
// GFX12: :[[@LINE-1]]:15: error: invalid operand for instruction

v_not_b16_e32 v5, v199
// GFX12: :[[@LINE-1]]:19: error: invalid operand for instruction

v_not_b16_e32 v5, v199 dpp8:[7,6,5,4,3,2,1,0]
// GFX12: :[[@LINE-1]]:19: error: invalid operand for instruction

v_not_b16_e32 v5, v199 quad_perm:[3,2,1,0]
// GFX12: :[[@LINE-1]]:19: error: invalid operand for instruction

v_rcp_f16_e32 v128, 0xfe0b
// GFX12: :[[@LINE-1]]:1: error: operands are not valid for this GPU or mode

v_rcp_f16_e32 v255, v1
// GFX12: :[[@LINE-1]]:1: error: operands are not valid for this GPU or mode

v_rcp_f16_e32 v255, v1 dpp8:[7,6,5,4,3,2,1,0]
// GFX12: :[[@LINE-1]]:24: error: invalid operand for instruction

v_rcp_f16_e32 v255, v1 quad_perm:[3,2,1,0]
// GFX12: :[[@LINE-1]]:24: error: invalid operand for instruction

v_rcp_f16_e32 v5, v199
// GFX12: :[[@LINE-1]]:1: error: operands are not valid for this GPU or mode

v_rcp_f16_e32 v5, v199 dpp8:[7,6,5,4,3,2,1,0]
// GFX12: :[[@LINE-1]]:24: error: invalid operand for instruction

v_rcp_f16_e32 v5, v199 quad_perm:[3,2,1,0]
// GFX12: :[[@LINE-1]]:24: error: invalid operand for instruction

v_rndne_f16_e32 v128, 0xfe0b
// GFX12: :[[@LINE-1]]:1: error: operands are not valid for this GPU or mode

v_rndne_f16_e32 v255, v1
// GFX12: :[[@LINE-1]]:1: error: operands are not valid for this GPU or mode

v_rndne_f16_e32 v255, v1 dpp8:[7,6,5,4,3,2,1,0]
// GFX12: :[[@LINE-1]]:26: error: invalid operand for instruction

v_rndne_f16_e32 v255, v1 quad_perm:[3,2,1,0]
// GFX12: :[[@LINE-1]]:26: error: invalid operand for instruction

v_rndne_f16_e32 v5, v199
// GFX12: :[[@LINE-1]]:1: error: operands are not valid for this GPU or mode

v_rndne_f16_e32 v5, v199 dpp8:[7,6,5,4,3,2,1,0]
// GFX12: :[[@LINE-1]]:26: error: invalid operand for instruction

v_rndne_f16_e32 v5, v199 quad_perm:[3,2,1,0]
// GFX12: :[[@LINE-1]]:26: error: invalid operand for instruction

v_rsq_f16_e32 v128, 0xfe0b
// GFX12: :[[@LINE-1]]:1: error: operands are not valid for this GPU or mode

v_rsq_f16_e32 v255, v1
// GFX12: :[[@LINE-1]]:1: error: operands are not valid for this GPU or mode

v_rsq_f16_e32 v255, v1 dpp8:[7,6,5,4,3,2,1,0]
// GFX12: :[[@LINE-1]]:24: error: invalid operand for instruction

v_rsq_f16_e32 v255, v1 quad_perm:[3,2,1,0]
// GFX12: :[[@LINE-1]]:24: error: invalid operand for instruction

v_rsq_f16_e32 v5, v199
// GFX12: :[[@LINE-1]]:1: error: operands are not valid for this GPU or mode

v_rsq_f16_e32 v5, v199 dpp8:[7,6,5,4,3,2,1,0]
// GFX12: :[[@LINE-1]]:24: error: invalid operand for instruction

v_rsq_f16_e32 v5, v199 quad_perm:[3,2,1,0]
// GFX12: :[[@LINE-1]]:24: error: invalid operand for instruction

v_sat_pk_u8_i16_e32 v199, v5
// GFX12: :[[@LINE-1]]:1: error: operands are not valid for this GPU or mode

v_sat_pk_u8_i16_e32 v199, v5 dpp8:[7,6,5,4,3,2,1,0]
// GFX12: :[[@LINE-1]]:30: error: invalid operand for instruction

v_sat_pk_u8_i16_e32 v199, v5 quad_perm:[3,2,1,0]
// GFX12: :[[@LINE-1]]:30: error: invalid operand for instruction

v_sin_f16_e32 v128, 0xfe0b
// GFX12: :[[@LINE-1]]:1: error: operands are not valid for this GPU or mode

v_sin_f16_e32 v255, v1
// GFX12: :[[@LINE-1]]:1: error: operands are not valid for this GPU or mode

v_sin_f16_e32 v255, v1 dpp8:[7,6,5,4,3,2,1,0]
// GFX12: :[[@LINE-1]]:24: error: invalid operand for instruction

v_sin_f16_e32 v255, v1 quad_perm:[3,2,1,0]
// GFX12: :[[@LINE-1]]:24: error: invalid operand for instruction

v_sin_f16_e32 v5, v199
// GFX12: :[[@LINE-1]]:1: error: operands are not valid for this GPU or mode

v_sin_f16_e32 v5, v199 dpp8:[7,6,5,4,3,2,1,0]
// GFX12: :[[@LINE-1]]:24: error: invalid operand for instruction

v_sin_f16_e32 v5, v199 quad_perm:[3,2,1,0]
// GFX12: :[[@LINE-1]]:24: error: invalid operand for instruction

v_sqrt_f16_e32 v128, 0xfe0b
// GFX12: :[[@LINE-1]]:1: error: operands are not valid for this GPU or mode

v_sqrt_f16_e32 v255, v1
// GFX12: :[[@LINE-1]]:1: error: operands are not valid for this GPU or mode

v_sqrt_f16_e32 v255, v1 dpp8:[7,6,5,4,3,2,1,0]
// GFX12: :[[@LINE-1]]:25: error: invalid operand for instruction

v_sqrt_f16_e32 v255, v1 quad_perm:[3,2,1,0]
// GFX12: :[[@LINE-1]]:25: error: invalid operand for instruction

v_sqrt_f16_e32 v5, v199
// GFX12: :[[@LINE-1]]:1: error: operands are not valid for this GPU or mode

v_sqrt_f16_e32 v5, v199 dpp8:[7,6,5,4,3,2,1,0]
// GFX12: :[[@LINE-1]]:25: error: invalid operand for instruction

v_sqrt_f16_e32 v5, v199 quad_perm:[3,2,1,0]
// GFX12: :[[@LINE-1]]:25: error: invalid operand for instruction

v_trunc_f16_e32 v128, 0xfe0b
// GFX12: :[[@LINE-1]]:1: error: operands are not valid for this GPU or mode

v_trunc_f16_e32 v255, v1
// GFX12: :[[@LINE-1]]:1: error: operands are not valid for this GPU or mode

v_trunc_f16_e32 v255, v1 dpp8:[7,6,5,4,3,2,1,0]
// GFX12: :[[@LINE-1]]:26: error: invalid operand for instruction

v_trunc_f16_e32 v255, v1 quad_perm:[3,2,1,0]
// GFX12: :[[@LINE-1]]:26: error: invalid operand for instruction

v_trunc_f16_e32 v5, v199
// GFX12: :[[@LINE-1]]:1: error: operands are not valid for this GPU or mode

v_trunc_f16_e32 v5, v199 dpp8:[7,6,5,4,3,2,1,0]
// GFX12: :[[@LINE-1]]:26: error: invalid operand for instruction

v_trunc_f16_e32 v5, v199 quad_perm:[3,2,1,0]
// GFX12: :[[@LINE-1]]:26: error: invalid operand for instruction
